;; amdgpu-corpus repo=ROCm/rocFFT kind=compiled arch=gfx906 opt=O3
	.text
	.amdgcn_target "amdgcn-amd-amdhsa--gfx906"
	.amdhsa_code_object_version 6
	.protected	fft_rtc_fwd_len60_factors_6_10_wgs_160_tpt_10_sp_ip_CI_sbcc_twdbase8_3step ; -- Begin function fft_rtc_fwd_len60_factors_6_10_wgs_160_tpt_10_sp_ip_CI_sbcc_twdbase8_3step
	.globl	fft_rtc_fwd_len60_factors_6_10_wgs_160_tpt_10_sp_ip_CI_sbcc_twdbase8_3step
	.p2align	8
	.type	fft_rtc_fwd_len60_factors_6_10_wgs_160_tpt_10_sp_ip_CI_sbcc_twdbase8_3step,@function
fft_rtc_fwd_len60_factors_6_10_wgs_160_tpt_10_sp_ip_CI_sbcc_twdbase8_3step: ; @fft_rtc_fwd_len60_factors_6_10_wgs_160_tpt_10_sp_ip_CI_sbcc_twdbase8_3step
; %bb.0:
	s_load_dwordx4 s[0:3], s[4:5], 0x18
	s_mov_b32 s7, 0
	s_mov_b64 s[24:25], 0
	s_waitcnt lgkmcnt(0)
	s_load_dwordx2 s[20:21], s[0:1], 0x8
	s_waitcnt lgkmcnt(0)
	s_add_u32 s8, s20, -1
	s_addc_u32 s9, s21, -1
	s_lshr_b64 s[8:9], s[8:9], 4
	s_add_u32 s22, s8, 1
	s_addc_u32 s23, s9, 0
	v_mov_b32_e32 v1, s22
	v_mov_b32_e32 v2, s23
	v_cmp_lt_u64_e32 vcc, s[6:7], v[1:2]
	s_cbranch_vccnz .LBB0_2
; %bb.1:
	v_cvt_f32_u32_e32 v1, s22
	s_sub_i32 s8, 0, s22
	s_mov_b32 s25, s7
	v_rcp_iflag_f32_e32 v1, v1
	v_mul_f32_e32 v1, 0x4f7ffffe, v1
	v_cvt_u32_f32_e32 v1, v1
	v_readfirstlane_b32 s9, v1
	s_mul_i32 s8, s8, s9
	s_mul_hi_u32 s8, s9, s8
	s_add_i32 s9, s9, s8
	s_mul_hi_u32 s8, s6, s9
	s_mul_i32 s10, s8, s22
	s_sub_i32 s10, s6, s10
	s_add_i32 s9, s8, 1
	s_sub_i32 s11, s10, s22
	s_cmp_ge_u32 s10, s22
	s_cselect_b32 s8, s9, s8
	s_cselect_b32 s10, s11, s10
	s_add_i32 s9, s8, 1
	s_cmp_ge_u32 s10, s22
	s_cselect_b32 s24, s9, s8
.LBB0_2:
	s_load_dwordx2 s[16:17], s[4:5], 0x58
	s_load_dwordx4 s[8:11], s[2:3], 0x0
	s_mul_i32 s12, s24, s23
	s_mul_hi_u32 s13, s24, s22
	s_add_i32 s13, s13, s12
	s_mul_i32 s12, s24, s22
	s_sub_u32 s26, s6, s12
	s_subb_u32 s27, 0, s13
	v_mov_b32_e32 v1, s26
	v_alignbit_b32 v1, s27, v1, 28
	s_waitcnt lgkmcnt(0)
	v_mul_lo_u32 v1, s10, v1
	s_load_dwordx2 s[18:19], s[4:5], 0x0
	s_load_dwordx4 s[12:15], s[4:5], 0x8
	s_lshl_b64 s[4:5], s[26:27], 4
	s_mul_hi_u32 s26, s10, s4
	v_add_u32_e32 v1, s26, v1
	s_mul_i32 s26, s11, s4
	v_add_u32_e32 v3, s26, v1
	s_waitcnt lgkmcnt(0)
	v_cmp_lt_u64_e64 s[26:27], s[14:15], 3
	s_mul_i32 s28, s10, s4
	v_mov_b32_e32 v4, s28
	s_and_b64 vcc, exec, s[26:27]
	s_cbranch_vccnz .LBB0_11
; %bb.3:
	s_add_u32 s26, s2, 16
	s_addc_u32 s27, s3, 0
	s_add_u32 s28, s0, 16
	v_mov_b32_e32 v1, s14
	s_addc_u32 s29, s1, 0
	s_mov_b64 s[30:31], 2
	s_mov_b32 s34, 0
	v_mov_b32_e32 v2, s15
	s_branch .LBB0_5
.LBB0_4:                                ;   in Loop: Header=BB0_5 Depth=1
	s_mul_i32 s23, s36, s23
	s_mul_hi_u32 s33, s36, s22
	s_add_i32 s23, s33, s23
	s_mul_i32 s33, s37, s22
	s_add_i32 s23, s23, s33
	s_mul_i32 s33, s0, s37
	s_mul_hi_u32 s35, s0, s36
	s_load_dwordx2 s[38:39], s[26:27], 0x0
	s_add_i32 s33, s35, s33
	s_mul_i32 s35, s1, s36
	s_add_i32 s33, s33, s35
	s_mul_i32 s35, s0, s36
	s_sub_u32 s24, s24, s35
	s_subb_u32 s25, s25, s33
	s_waitcnt lgkmcnt(0)
	s_mul_i32 s25, s38, s25
	s_mul_hi_u32 s33, s38, s24
	s_add_i32 s25, s33, s25
	s_mul_i32 s33, s39, s24
	s_add_i32 s25, s25, s33
	s_mul_i32 s24, s38, s24
	s_add_u32 s30, s30, 1
	v_mov_b32_e32 v5, s25
	v_add_co_u32_e32 v4, vcc, s24, v4
	s_addc_u32 s31, s31, 0
	v_addc_co_u32_e32 v3, vcc, v5, v3, vcc
	s_add_u32 s26, s26, 8
	s_addc_u32 s27, s27, 0
	v_cmp_ge_u64_e32 vcc, s[30:31], v[1:2]
	s_add_u32 s28, s28, 8
	s_mul_i32 s22, s36, s22
	s_addc_u32 s29, s29, 0
	s_mov_b64 s[24:25], s[0:1]
	s_cbranch_vccnz .LBB0_9
.LBB0_5:                                ; =>This Inner Loop Header: Depth=1
	s_load_dwordx2 s[36:37], s[28:29], 0x0
	s_waitcnt lgkmcnt(0)
	s_or_b64 s[0:1], s[24:25], s[36:37]
	s_mov_b32 s35, s1
	s_cmp_lg_u64 s[34:35], 0
	s_cbranch_scc0 .LBB0_7
; %bb.6:                                ;   in Loop: Header=BB0_5 Depth=1
	v_cvt_f32_u32_e32 v5, s36
	v_cvt_f32_u32_e32 v6, s37
	s_sub_u32 s0, 0, s36
	s_subb_u32 s1, 0, s37
	v_mac_f32_e32 v5, 0x4f800000, v6
	v_rcp_f32_e32 v5, v5
	v_mul_f32_e32 v5, 0x5f7ffffc, v5
	v_mul_f32_e32 v6, 0x2f800000, v5
	v_trunc_f32_e32 v6, v6
	v_mac_f32_e32 v5, 0xcf800000, v6
	v_cvt_u32_f32_e32 v6, v6
	v_cvt_u32_f32_e32 v5, v5
	v_readfirstlane_b32 s33, v6
	v_readfirstlane_b32 s35, v5
	s_mul_i32 s38, s0, s33
	s_mul_hi_u32 s40, s0, s35
	s_mul_i32 s39, s1, s35
	s_add_i32 s38, s40, s38
	s_mul_i32 s41, s0, s35
	s_add_i32 s38, s38, s39
	s_mul_hi_u32 s39, s35, s38
	s_mul_i32 s40, s35, s38
	s_mul_hi_u32 s35, s35, s41
	s_add_u32 s35, s35, s40
	s_addc_u32 s39, 0, s39
	s_mul_hi_u32 s42, s33, s41
	s_mul_i32 s41, s33, s41
	s_add_u32 s35, s35, s41
	s_mul_hi_u32 s40, s33, s38
	s_addc_u32 s35, s39, s42
	s_addc_u32 s39, s40, 0
	s_mul_i32 s38, s33, s38
	s_add_u32 s35, s35, s38
	s_addc_u32 s38, 0, s39
	v_add_co_u32_e32 v5, vcc, s35, v5
	s_cmp_lg_u64 vcc, 0
	s_addc_u32 s33, s33, s38
	v_readfirstlane_b32 s38, v5
	s_mul_i32 s35, s0, s33
	s_mul_hi_u32 s39, s0, s38
	s_add_i32 s35, s39, s35
	s_mul_i32 s1, s1, s38
	s_add_i32 s35, s35, s1
	s_mul_i32 s0, s0, s38
	s_mul_hi_u32 s39, s33, s0
	s_mul_i32 s40, s33, s0
	s_mul_i32 s42, s38, s35
	s_mul_hi_u32 s0, s38, s0
	s_mul_hi_u32 s41, s38, s35
	s_add_u32 s0, s0, s42
	s_addc_u32 s38, 0, s41
	s_add_u32 s0, s0, s40
	s_mul_hi_u32 s1, s33, s35
	s_addc_u32 s0, s38, s39
	s_addc_u32 s1, s1, 0
	s_mul_i32 s35, s33, s35
	s_add_u32 s0, s0, s35
	s_addc_u32 s1, 0, s1
	v_add_co_u32_e32 v5, vcc, s0, v5
	s_cmp_lg_u64 vcc, 0
	s_addc_u32 s0, s33, s1
	v_readfirstlane_b32 s35, v5
	s_mul_i32 s33, s24, s0
	s_mul_hi_u32 s38, s24, s35
	s_mul_hi_u32 s1, s24, s0
	s_add_u32 s33, s38, s33
	s_addc_u32 s1, 0, s1
	s_mul_hi_u32 s39, s25, s35
	s_mul_i32 s35, s25, s35
	s_add_u32 s33, s33, s35
	s_mul_hi_u32 s38, s25, s0
	s_addc_u32 s1, s1, s39
	s_addc_u32 s33, s38, 0
	s_mul_i32 s0, s25, s0
	s_add_u32 s35, s1, s0
	s_addc_u32 s33, 0, s33
	s_mul_i32 s0, s36, s33
	s_mul_hi_u32 s1, s36, s35
	s_add_i32 s0, s1, s0
	s_mul_i32 s1, s37, s35
	s_add_i32 s38, s0, s1
	s_mul_i32 s1, s36, s35
	v_mov_b32_e32 v5, s1
	s_sub_i32 s0, s25, s38
	v_sub_co_u32_e32 v5, vcc, s24, v5
	s_cmp_lg_u64 vcc, 0
	s_subb_u32 s39, s0, s37
	v_subrev_co_u32_e64 v6, s[0:1], s36, v5
	s_cmp_lg_u64 s[0:1], 0
	s_subb_u32 s0, s39, 0
	s_cmp_ge_u32 s0, s37
	v_readfirstlane_b32 s39, v6
	s_cselect_b32 s1, -1, 0
	s_cmp_ge_u32 s39, s36
	s_cselect_b32 s39, -1, 0
	s_cmp_eq_u32 s0, s37
	s_cselect_b32 s0, s39, s1
	s_add_u32 s1, s35, 1
	s_addc_u32 s39, s33, 0
	s_add_u32 s40, s35, 2
	s_addc_u32 s41, s33, 0
	s_cmp_lg_u32 s0, 0
	s_cselect_b32 s0, s40, s1
	s_cselect_b32 s1, s41, s39
	s_cmp_lg_u64 vcc, 0
	s_subb_u32 s38, s25, s38
	s_cmp_ge_u32 s38, s37
	v_readfirstlane_b32 s40, v5
	s_cselect_b32 s39, -1, 0
	s_cmp_ge_u32 s40, s36
	s_cselect_b32 s40, -1, 0
	s_cmp_eq_u32 s38, s37
	s_cselect_b32 s38, s40, s39
	s_cmp_lg_u32 s38, 0
	s_cselect_b32 s1, s1, s33
	s_cselect_b32 s0, s0, s35
	s_cbranch_execnz .LBB0_4
	s_branch .LBB0_8
.LBB0_7:                                ;   in Loop: Header=BB0_5 Depth=1
                                        ; implicit-def: $sgpr0_sgpr1
.LBB0_8:                                ;   in Loop: Header=BB0_5 Depth=1
	v_cvt_f32_u32_e32 v5, s36
	s_sub_i32 s0, 0, s36
	v_rcp_iflag_f32_e32 v5, v5
	v_mul_f32_e32 v5, 0x4f7ffffe, v5
	v_cvt_u32_f32_e32 v5, v5
	v_readfirstlane_b32 s1, v5
	s_mul_i32 s0, s0, s1
	s_mul_hi_u32 s0, s1, s0
	s_add_i32 s1, s1, s0
	s_mul_hi_u32 s0, s24, s1
	s_mul_i32 s33, s0, s36
	s_sub_i32 s33, s24, s33
	s_add_i32 s1, s0, 1
	s_sub_i32 s35, s33, s36
	s_cmp_ge_u32 s33, s36
	s_cselect_b32 s0, s1, s0
	s_cselect_b32 s33, s35, s33
	s_add_i32 s1, s0, 1
	s_cmp_ge_u32 s33, s36
	s_cselect_b32 s0, s1, s0
	s_mov_b32 s1, s34
	s_branch .LBB0_4
.LBB0_9:
	v_mov_b32_e32 v1, s22
	v_mov_b32_e32 v2, s23
	v_cmp_lt_u64_e32 vcc, s[6:7], v[1:2]
	s_mov_b64 s[24:25], 0
	s_cbranch_vccnz .LBB0_11
; %bb.10:
	v_cvt_f32_u32_e32 v1, s22
	s_sub_i32 s0, 0, s22
	v_rcp_iflag_f32_e32 v1, v1
	v_mul_f32_e32 v1, 0x4f7ffffe, v1
	v_cvt_u32_f32_e32 v1, v1
	v_readfirstlane_b32 s1, v1
	s_mul_i32 s0, s0, s1
	s_mul_hi_u32 s0, s1, s0
	s_add_i32 s1, s1, s0
	s_mul_hi_u32 s0, s6, s1
	s_mul_i32 s7, s0, s22
	s_sub_i32 s6, s6, s7
	s_add_i32 s1, s0, 1
	s_sub_i32 s7, s6, s22
	s_cmp_ge_u32 s6, s22
	s_cselect_b32 s0, s1, s0
	s_cselect_b32 s6, s7, s6
	s_add_i32 s1, s0, 1
	s_cmp_ge_u32 s6, s22
	s_cselect_b32 s24, s1, s0
.LBB0_11:
	s_lshl_b64 s[0:1], s[14:15], 3
	s_add_u32 s0, s2, s0
	s_addc_u32 s1, s3, s1
	s_load_dwordx2 s[0:1], s[0:1], 0x0
	v_and_b32_e32 v87, 15, v0
	v_lshrrev_b32_e32 v89, 4, v0
	v_lshlrev_b32_e32 v88, 3, v89
	v_add_u32_e32 v86, 10, v89
	s_waitcnt lgkmcnt(0)
	s_mul_i32 s1, s1, s24
	s_mul_hi_u32 s2, s0, s24
	s_mul_i32 s0, s0, s24
	s_add_i32 s1, s2, s1
	v_mov_b32_e32 v2, s1
	v_add_co_u32_e32 v1, vcc, s0, v4
	v_addc_co_u32_e32 v2, vcc, v2, v3, vcc
	s_add_u32 s0, s4, 16
	v_mov_b32_e32 v3, s20
	s_addc_u32 s1, s5, 0
	v_mov_b32_e32 v4, s21
	v_cmp_le_u64_e32 vcc, s[0:1], v[3:4]
	v_or_b32_e32 v3, s4, v87
	v_mov_b32_e32 v4, s5
	v_cmp_gt_u64_e64 s[0:1], s[20:21], v[3:4]
	v_lshlrev_b64 v[8:9], 3, v[1:2]
	s_or_b64 s[0:1], vcc, s[0:1]
	v_add_u32_e32 v85, 20, v89
	v_add_u32_e32 v84, 30, v89
	;; [unrolled: 1-line block ×4, first 2 shown]
	s_and_saveexec_b64 s[2:3], s[0:1]
	s_cbranch_execz .LBB0_13
; %bb.12:
	v_mad_u64_u32 v[1:2], s[6:7], s10, v87, 0
	v_mad_u64_u32 v[3:4], s[6:7], s8, v89, 0
	;; [unrolled: 1-line block ×4, first 2 shown]
	v_mov_b32_e32 v2, v4
	v_mad_u64_u32 v[6:7], s[6:7], s9, v89, v[2:3]
	v_mov_b32_e32 v2, v5
	v_mov_b32_e32 v5, s17
	v_add_co_u32_e32 v7, vcc, s16, v8
	v_mov_b32_e32 v4, v6
	v_addc_co_u32_e32 v10, vcc, v5, v9, vcc
	v_mad_u64_u32 v[5:6], s[6:7], s8, v86, 0
	v_lshlrev_b64 v[1:2], 3, v[1:2]
	v_add_co_u32_e32 v26, vcc, v7, v1
	v_addc_co_u32_e32 v27, vcc, v10, v2, vcc
	v_lshlrev_b64 v[1:2], 3, v[3:4]
	v_mov_b32_e32 v3, v6
	v_mad_u64_u32 v[3:4], s[6:7], s9, v86, v[3:4]
	v_mad_u64_u32 v[10:11], s[6:7], s8, v85, 0
	v_mov_b32_e32 v6, v3
	v_lshlrev_b64 v[3:4], 3, v[5:6]
	v_mov_b32_e32 v5, v11
	v_mad_u64_u32 v[5:6], s[6:7], s9, v85, v[5:6]
	v_mad_u64_u32 v[6:7], s[6:7], s8, v84, 0
	v_mov_b32_e32 v11, v5
	v_add_co_u32_e32 v1, vcc, v26, v1
	v_mov_b32_e32 v5, v7
	v_mad_u64_u32 v[12:13], s[6:7], s9, v84, v[5:6]
	v_addc_co_u32_e32 v2, vcc, v27, v2, vcc
	v_mov_b32_e32 v7, v12
	v_mad_u64_u32 v[12:13], s[6:7], s8, v83, 0
	v_lshlrev_b64 v[5:6], 3, v[6:7]
	v_add_co_u32_e32 v3, vcc, v26, v3
	v_mov_b32_e32 v7, v13
	v_lshlrev_b64 v[10:11], 3, v[10:11]
	v_mad_u64_u32 v[16:17], s[6:7], s9, v83, v[7:8]
	v_addc_co_u32_e32 v4, vcc, v27, v4, vcc
	v_mov_b32_e32 v7, v15
	v_add_co_u32_e32 v10, vcc, v26, v10
	v_mad_u64_u32 v[17:18], s[6:7], s9, v82, v[7:8]
	v_addc_co_u32_e32 v11, vcc, v27, v11, vcc
	v_add_co_u32_e32 v5, vcc, v26, v5
	v_mov_b32_e32 v13, v16
	v_addc_co_u32_e32 v6, vcc, v27, v6, vcc
	global_load_dwordx2 v[18:19], v[1:2], off
	global_load_dwordx2 v[20:21], v[3:4], off
	;; [unrolled: 1-line block ×4, first 2 shown]
	v_lshlrev_b64 v[1:2], 3, v[12:13]
	v_mov_b32_e32 v15, v17
	v_add_co_u32_e32 v1, vcc, v26, v1
	v_lshlrev_b64 v[3:4], 3, v[14:15]
	v_addc_co_u32_e32 v2, vcc, v27, v2, vcc
	v_add_co_u32_e32 v3, vcc, v26, v3
	v_addc_co_u32_e32 v4, vcc, v27, v4, vcc
	global_load_dwordx2 v[5:6], v[1:2], off
	global_load_dwordx2 v[10:11], v[3:4], off
	v_mul_u32_u24_e32 v1, 0x1e0, v87
	v_add3_u32 v1, 0, v1, v88
	s_waitcnt vmcnt(4)
	ds_write2_b64 v1, v[18:19], v[20:21] offset1:10
	s_waitcnt vmcnt(2)
	ds_write2_b64 v1, v[22:23], v[24:25] offset0:20 offset1:30
	s_waitcnt vmcnt(0)
	ds_write2_b64 v1, v[5:6], v[10:11] offset0:40 offset1:50
.LBB0_13:
	s_or_b64 exec, exec, s[2:3]
	s_mov_b32 s2, 0xcccd
	v_mul_u32_u24_sdwa v1, v0, s2 dst_sel:DWORD dst_unused:UNUSED_PAD src0_sel:WORD_0 src1_sel:DWORD
	v_lshrrev_b32_e32 v13, 19, v1
	v_and_b32_e32 v1, 15, v13
	v_mul_lo_u16_e32 v2, 10, v13
	v_mul_lo_u16_e32 v1, 60, v1
	v_sub_u16_e32 v12, v0, v2
	v_lshlrev_b32_e32 v0, 3, v1
	v_lshlrev_b32_e32 v1, 3, v12
	v_add3_u32 v90, 0, v1, v0
	s_waitcnt lgkmcnt(0)
	s_barrier
	v_add3_u32 v91, 0, v0, v1
	ds_read2_b64 v[0:3], v90 offset0:10 offset1:20
	ds_read_b64 v[14:15], v91
	ds_read2_b64 v[4:7], v90 offset0:30 offset1:40
	ds_read_b64 v[10:11], v90 offset:400
	v_cmp_gt_u16_e32 vcc, 6, v12
	s_waitcnt lgkmcnt(0)
	v_add_f32_e32 v21, v15, v3
	v_sub_f32_e32 v20, v3, v7
	v_add_f32_e32 v3, v3, v7
	v_add_f32_e32 v18, v4, v10
	v_fmac_f32_e32 v15, -0.5, v3
	v_add_f32_e32 v16, v14, v2
	v_add_f32_e32 v17, v2, v6
	v_fma_f32 v18, -0.5, v18, v0
	v_add_f32_e32 v19, v5, v11
	v_sub_f32_e32 v2, v2, v6
	v_mov_b32_e32 v3, v15
	v_fma_f32 v19, -0.5, v19, v1
	v_add_f32_e32 v0, v0, v4
	v_add_f32_e32 v1, v1, v5
	v_sub_f32_e32 v5, v5, v11
	v_fmac_f32_e32 v3, 0xbf5db3d7, v2
	v_fmac_f32_e32 v15, 0x3f5db3d7, v2
	v_mov_b32_e32 v2, v18
	v_add_f32_e32 v6, v16, v6
	v_sub_f32_e32 v4, v4, v10
	v_add_f32_e32 v0, v0, v10
	v_fmac_f32_e32 v2, 0x3f5db3d7, v5
	v_fmac_f32_e32 v18, 0xbf5db3d7, v5
	v_mov_b32_e32 v5, v19
	v_fmac_f32_e32 v5, 0xbf5db3d7, v4
	v_add_f32_e32 v10, v6, v0
	v_sub_f32_e32 v42, v6, v0
	v_mul_f32_e32 v0, 0xbf5db3d7, v2
	v_add_f32_e32 v7, v21, v7
	v_fma_f32 v14, -0.5, v17, v14
	v_add_f32_e32 v1, v1, v11
	v_fmac_f32_e32 v19, 0x3f5db3d7, v4
	v_fmac_f32_e32 v0, 0.5, v5
	v_mov_b32_e32 v16, v14
	v_mul_f32_e32 v4, 0x3f5db3d7, v5
	v_add_f32_e32 v11, v7, v1
	v_sub_f32_e32 v43, v7, v1
	v_mul_f32_e32 v1, -0.5, v18
	v_add_f32_e32 v45, v3, v0
	v_sub_f32_e32 v55, v3, v0
	v_mul_f32_e32 v0, -0.5, v19
	v_fmac_f32_e32 v16, 0x3f5db3d7, v20
	v_fmac_f32_e32 v14, 0xbf5db3d7, v20
	v_fmac_f32_e32 v4, 0.5, v2
	v_fmac_f32_e32 v1, 0x3f5db3d7, v19
	v_fmac_f32_e32 v0, 0xbf5db3d7, v18
	v_add_f32_e32 v44, v16, v4
	v_sub_f32_e32 v54, v16, v4
	v_add_f32_e32 v56, v14, v1
	v_add_f32_e32 v57, v15, v0
	v_sub_f32_e32 v46, v14, v1
	v_sub_f32_e32 v47, v15, v0
	v_mad_u32_u24 v0, v12, 40, v90
	s_barrier
	ds_write2_b64 v0, v[10:11], v[44:45] offset1:1
	ds_write2_b64 v0, v[56:57], v[42:43] offset0:2 offset1:3
	ds_write2_b64 v0, v[54:55], v[46:47] offset0:4 offset1:5
	s_waitcnt lgkmcnt(0)
	s_barrier
	s_waitcnt lgkmcnt(0)
                                        ; implicit-def: $vgpr53
                                        ; implicit-def: $vgpr3
                                        ; implicit-def: $vgpr7
	s_and_saveexec_b64 s[2:3], vcc
	s_cbranch_execz .LBB0_15
; %bb.14:
	ds_read2_b64 v[14:17], v90 offset0:6 offset1:12
	ds_read2_b64 v[4:7], v90 offset0:30 offset1:36
	;; [unrolled: 1-line block ×4, first 2 shown]
	ds_read_b64 v[10:11], v91
	ds_read_b64 v[52:53], v90 offset:432
	s_waitcnt lgkmcnt(4)
	v_mov_b32_e32 v47, v5
	v_mov_b32_e32 v46, v4
	s_waitcnt lgkmcnt(3)
	v_mov_b32_e32 v55, v21
	v_mov_b32_e32 v54, v20
	;; [unrolled: 1-line block ×8, first 2 shown]
.LBB0_15:
	s_or_b64 exec, exec, s[2:3]
	v_add_u32_e32 v5, -6, v12
	v_cndmask_b32_e32 v92, v5, v12, vcc
	v_add_u32_sdwa v4, s4, v13 dst_sel:DWORD dst_unused:UNUSED_PAD src0_sel:DWORD src1_sel:WORD_0
	v_add_u32_e32 v13, 6, v92
	v_mul_lo_u32 v5, v4, v92
	v_mul_lo_u32 v13, v4, v13
	v_mov_b32_e32 v12, 3
	v_mov_b32_e32 v14, 0x1000
	v_lshlrev_b32_sdwa v40, v12, v5 dst_sel:DWORD dst_unused:UNUSED_PAD src0_sel:DWORD src1_sel:BYTE_0
	v_lshlrev_b32_sdwa v41, v12, v5 dst_sel:DWORD dst_unused:UNUSED_PAD src0_sel:DWORD src1_sel:BYTE_1
	v_bfe_u32 v5, v5, 16, 8
	v_lshlrev_b32_sdwa v49, v12, v13 dst_sel:DWORD dst_unused:UNUSED_PAD src0_sel:DWORD src1_sel:BYTE_0
	v_lshlrev_b32_sdwa v50, v12, v13 dst_sel:DWORD dst_unused:UNUSED_PAD src0_sel:DWORD src1_sel:BYTE_1
	v_bfe_u32 v13, v13, 16, 8
	v_lshl_or_b32 v48, v5, 3, v14
	v_add_u32_e32 v5, 12, v92
	v_lshl_or_b32 v51, v13, 3, v14
	v_add_u32_e32 v13, 18, v92
	v_mul_lo_u32 v5, v4, v5
	v_mul_lo_u32 v13, v4, v13
	v_lshlrev_b32_sdwa v58, v12, v5 dst_sel:DWORD dst_unused:UNUSED_PAD src0_sel:DWORD src1_sel:BYTE_0
	v_lshlrev_b32_sdwa v59, v12, v5 dst_sel:DWORD dst_unused:UNUSED_PAD src0_sel:DWORD src1_sel:BYTE_1
	v_bfe_u32 v5, v5, 16, 8
	v_lshlrev_b32_sdwa v61, v12, v13 dst_sel:DWORD dst_unused:UNUSED_PAD src0_sel:DWORD src1_sel:BYTE_0
	v_lshlrev_b32_sdwa v62, v12, v13 dst_sel:DWORD dst_unused:UNUSED_PAD src0_sel:DWORD src1_sel:BYTE_1
	v_bfe_u32 v13, v13, 16, 8
	v_lshl_or_b32 v60, v5, 3, v14
	v_or_b32_e32 v5, 24, v92
	v_lshl_or_b32 v63, v13, 3, v14
	v_add_u32_e32 v13, 30, v92
	v_mul_lo_u32 v5, v4, v5
	v_mul_lo_u32 v13, v4, v13
	v_lshlrev_b32_sdwa v64, v12, v5 dst_sel:DWORD dst_unused:UNUSED_PAD src0_sel:DWORD src1_sel:BYTE_0
	v_lshlrev_b32_sdwa v65, v12, v5 dst_sel:DWORD dst_unused:UNUSED_PAD src0_sel:DWORD src1_sel:BYTE_1
	v_bfe_u32 v5, v5, 16, 8
	v_lshlrev_b32_sdwa v93, v12, v13 dst_sel:DWORD dst_unused:UNUSED_PAD src0_sel:DWORD src1_sel:BYTE_0
	v_lshlrev_b32_sdwa v94, v12, v13 dst_sel:DWORD dst_unused:UNUSED_PAD src0_sel:DWORD src1_sel:BYTE_1
	v_bfe_u32 v13, v13, 16, 8
	v_lshl_or_b32 v66, v5, 3, v14
	v_add_u32_e32 v5, 36, v92
	v_lshl_or_b32 v95, v13, 3, v14
	v_add_u32_e32 v13, 42, v92
	v_mul_lo_u32 v5, v4, v5
	v_mul_lo_u32 v13, v4, v13
	v_lshlrev_b32_sdwa v96, v12, v5 dst_sel:DWORD dst_unused:UNUSED_PAD src0_sel:DWORD src1_sel:BYTE_0
	v_lshlrev_b32_sdwa v97, v12, v5 dst_sel:DWORD dst_unused:UNUSED_PAD src0_sel:DWORD src1_sel:BYTE_1
	v_bfe_u32 v5, v5, 16, 8
	v_lshlrev_b32_sdwa v99, v12, v13 dst_sel:DWORD dst_unused:UNUSED_PAD src0_sel:DWORD src1_sel:BYTE_0
	v_lshlrev_b32_sdwa v100, v12, v13 dst_sel:DWORD dst_unused:UNUSED_PAD src0_sel:DWORD src1_sel:BYTE_1
	v_bfe_u32 v13, v13, 16, 8
	v_lshl_or_b32 v98, v5, 3, v14
	v_or_b32_e32 v5, 48, v92
	v_lshl_or_b32 v101, v13, 3, v14
	v_add_u32_e32 v13, 54, v92
	v_mul_lo_u32 v5, v4, v5
	v_mul_lo_u32 v4, v4, v13
	v_lshlrev_b32_sdwa v102, v12, v5 dst_sel:DWORD dst_unused:UNUSED_PAD src0_sel:DWORD src1_sel:BYTE_0
	v_lshlrev_b32_sdwa v103, v12, v5 dst_sel:DWORD dst_unused:UNUSED_PAD src0_sel:DWORD src1_sel:BYTE_1
	v_bfe_u32 v5, v5, 16, 8
	v_lshlrev_b32_sdwa v105, v12, v4 dst_sel:DWORD dst_unused:UNUSED_PAD src0_sel:DWORD src1_sel:BYTE_0
	v_lshlrev_b32_sdwa v106, v12, v4 dst_sel:DWORD dst_unused:UNUSED_PAD src0_sel:DWORD src1_sel:BYTE_1
	v_bfe_u32 v4, v4, 16, 8
	v_lshl_or_b32 v104, v5, 3, v14
	v_lshl_or_b32 v107, v4, 3, v14
	global_load_dwordx2 v[12:13], v40, s[12:13]
	global_load_dwordx2 v[14:15], v41, s[12:13] offset:2048
	global_load_dwordx2 v[4:5], v48, s[12:13]
	global_load_dwordx2 v[18:19], v49, s[12:13]
	global_load_dwordx2 v[20:21], v50, s[12:13] offset:2048
	global_load_dwordx2 v[16:17], v51, s[12:13]
	;; [unrolled: 3-line block ×5, first 2 shown]
                                        ; kill: killed $vgpr62
                                        ; kill: killed $vgpr66
                                        ; kill: killed $vgpr40
                                        ; kill: killed $vgpr61
                                        ; kill: killed $vgpr48
                                        ; kill: killed $vgpr65
                                        ; kill: killed $vgpr64
                                        ; kill: killed $vgpr51
                                        ; kill: killed $vgpr50
                                        ; kill: killed $vgpr60
                                        ; kill: killed $vgpr49
                                        ; kill: killed $vgpr59
                                        ; kill: killed $vgpr63
                                        ; kill: killed $vgpr41
                                        ; kill: killed $vgpr58
	global_load_dwordx2 v[48:49], v93, s[12:13]
	global_load_dwordx2 v[50:51], v94, s[12:13] offset:2048
	global_load_dwordx2 v[40:41], v95, s[12:13]
	global_load_dwordx2 v[60:61], v96, s[12:13]
	global_load_dwordx2 v[62:63], v97, s[12:13] offset:2048
	global_load_dwordx2 v[58:59], v98, s[12:13]
	global_load_dwordx2 v[66:67], v99, s[12:13]
	global_load_dwordx2 v[68:69], v100, s[12:13] offset:2048
	global_load_dwordx2 v[64:65], v101, s[12:13]
	global_load_dwordx2 v[72:73], v102, s[12:13]
	global_load_dwordx2 v[74:75], v103, s[12:13] offset:2048
	global_load_dwordx2 v[70:71], v104, s[12:13]
	global_load_dwordx2 v[78:79], v105, s[12:13]
	global_load_dwordx2 v[80:81], v106, s[12:13] offset:2048
	global_load_dwordx2 v[76:77], v107, s[12:13]
	s_waitcnt vmcnt(0) lgkmcnt(0)
	s_barrier
	s_and_saveexec_b64 s[2:3], vcc
	s_cbranch_execz .LBB0_17
; %bb.16:
	v_mul_i32_i24_e32 v92, 9, v92
	v_mov_b32_e32 v93, 0
	v_lshlrev_b64 v[92:93], 3, v[92:93]
	v_mov_b32_e32 v94, s19
	v_add_co_u32_e32 v108, vcc, s18, v92
	v_addc_co_u32_e32 v109, vcc, v94, v93, vcc
	global_load_dwordx4 v[92:95], v[108:109], off
	global_load_dwordx4 v[96:99], v[108:109], off offset:16
	global_load_dwordx4 v[100:103], v[108:109], off offset:48
	;; [unrolled: 1-line block ×3, first 2 shown]
	global_load_dwordx2 v[110:111], v[108:109], off offset:64
	v_mul_f32_e32 v108, v79, v81
	v_mul_f32_e32 v81, v78, v81
	v_fma_f32 v78, v78, v80, -v108
	v_fmac_f32_e32 v81, v79, v80
	s_mov_b32 s7, 0xbf167918
	s_mov_b32 s5, 0x3f167918
	v_mul_f32_e32 v79, v81, v77
	v_fma_f32 v79, v76, v78, -v79
	v_mul_f32_e32 v119, v73, v75
	v_fma_f32 v119, v72, v74, -v119
	v_mul_f32_e32 v72, v72, v75
	v_fmac_f32_e32 v72, v73, v74
	s_mov_b32 s6, 0xbf737871
	s_mov_b32 s4, 0x3f737871
	v_mul_f32_e32 v73, v72, v71
	v_mul_f32_e32 v71, v119, v71
	v_fmac_f32_e32 v71, v70, v72
	v_fma_f32 v73, v70, v119, -v73
	s_waitcnt vmcnt(4)
	v_mul_f32_e32 v80, v56, v95
	s_waitcnt vmcnt(3)
	v_mul_f32_e32 v113, v43, v97
	;; [unrolled: 2-line block ×5, first 2 shown]
	v_mul_f32_e32 v97, v42, v97
	v_mul_f32_e32 v111, v52, v111
	;; [unrolled: 1-line block ×11, first 2 shown]
	v_fmac_f32_e32 v97, v43, v96
	v_fmac_f32_e32 v111, v53, v110
	;; [unrolled: 1-line block ×4, first 2 shown]
	v_mul_f32_e32 v107, v7, v107
	v_mul_f32_e32 v103, v3, v103
	v_fmac_f32_e32 v80, v57, v94
	v_fmac_f32_e32 v108, v55, v98
	;; [unrolled: 1-line block ×4, first 2 shown]
	v_fma_f32 v54, v54, v98, -v99
	v_fma_f32 v56, v56, v94, -v95
	;; [unrolled: 1-line block ×7, first 2 shown]
	v_fmac_f32_e32 v93, v45, v92
	v_sub_f32_e32 v53, v97, v105
	v_sub_f32_e32 v92, v111, v101
	v_add_f32_e32 v99, v105, v101
	v_fma_f32 v55, v6, v106, -v107
	v_fma_f32 v57, v2, v102, -v103
	v_sub_f32_e32 v0, v80, v108
	v_sub_f32_e32 v1, v109, v112
	;; [unrolled: 1-line block ×4, first 2 shown]
	v_add_f32_e32 v7, v46, v95
	v_add_f32_e32 v53, v53, v92
	v_fma_f32 v92, -0.5, v99, v93
	v_sub_f32_e32 v98, v94, v52
	v_add_f32_e32 v100, v0, v1
	v_add_f32_e32 v103, v3, v6
	v_fma_f32 v104, -0.5, v7, v44
	v_mov_b32_e32 v1, v92
	v_sub_f32_e32 v3, v56, v54
	v_sub_f32_e32 v6, v57, v55
	;; [unrolled: 1-line block ×4, first 2 shown]
	v_mov_b32_e32 v0, v104
	v_fmac_f32_e32 v1, 0x3f737871, v98
	v_add_f32_e32 v107, v3, v6
	v_add_f32_e32 v3, v54, v55
	;; [unrolled: 1-line block ×3, first 2 shown]
	v_sub_f32_e32 v47, v105, v101
	v_fmac_f32_e32 v0, 0xbf737871, v45
	v_fmac_f32_e32 v1, 0x3f167918, v96
	v_fma_f32 v110, -0.5, v3, v10
	v_fma_f32 v102, -0.5, v2, v11
	v_fmac_f32_e32 v0, 0xbf167918, v47
	v_fmac_f32_e32 v1, 0x3e9e377a, v53
	v_sub_f32_e32 v113, v80, v109
	v_mov_b32_e32 v114, v110
	v_sub_f32_e32 v43, v56, v57
	v_mov_b32_e32 v99, v102
	v_fmac_f32_e32 v0, 0x3e9e377a, v103
	v_mul_f32_e32 v2, 0x3f4f1bbd, v1
	v_fmac_f32_e32 v114, 0xbf737871, v113
	v_sub_f32_e32 v115, v108, v112
	v_sub_f32_e32 v42, v54, v55
	v_fmac_f32_e32 v99, 0x3f737871, v43
	v_fma_f32 v106, v0, s7, -v2
	v_fmac_f32_e32 v114, 0xbf167918, v115
	v_mul_f32_e32 v0, 0x3f4f1bbd, v0
	v_fmac_f32_e32 v99, 0x3f167918, v42
	v_fmac_f32_e32 v114, 0x3e9e377a, v107
	v_fma_f32 v116, v1, s5, -v0
	v_mul_f32_e32 v3, v78, v77
	v_fmac_f32_e32 v99, 0x3e9e377a, v100
	v_sub_f32_e32 v0, v114, v116
	v_fmac_f32_e32 v3, v76, v81
	v_sub_f32_e32 v2, v99, v106
	v_mul_f32_e32 v1, v0, v3
	v_fmac_f32_e32 v1, v2, v79
	v_mul_f32_e32 v2, v2, v3
	v_fma_f32 v0, v0, v79, -v2
	v_sub_f32_e32 v2, v108, v80
	v_sub_f32_e32 v3, v112, v109
	v_add_f32_e32 v6, v2, v3
	v_add_f32_e32 v2, v80, v109
	v_fma_f32 v76, -0.5, v2, v11
	v_sub_f32_e32 v2, v46, v94
	v_sub_f32_e32 v3, v95, v52
	v_add_f32_e32 v7, v2, v3
	v_add_f32_e32 v2, v94, v52
	v_mov_b32_e32 v77, v76
	v_fma_f32 v78, -0.5, v2, v44
	v_fmac_f32_e32 v92, 0xbf737871, v98
	v_fmac_f32_e32 v77, 0xbf737871, v42
	v_mov_b32_e32 v2, v78
	v_fmac_f32_e32 v76, 0x3f737871, v42
	v_fmac_f32_e32 v92, 0xbf167918, v96
	;; [unrolled: 1-line block ×10, first 2 shown]
	v_mul_f32_e32 v43, v61, v63
	v_mul_f32_e32 v47, v60, v63
	v_fmac_f32_e32 v110, 0x3f737871, v113
	v_add_f32_e32 v11, v11, v80
	v_fmac_f32_e32 v104, 0x3e9e377a, v103
	v_fma_f32 v43, v60, v62, -v43
	v_fmac_f32_e32 v47, v61, v62
	v_fmac_f32_e32 v110, 0x3f167918, v115
	v_mul_f32_e32 v60, 0x3f167918, v92
	v_add_f32_e32 v11, v11, v108
	v_fmac_f32_e32 v2, 0xbf167918, v45
	v_fmac_f32_e32 v78, 0x3f167918, v45
	;; [unrolled: 1-line block ×3, first 2 shown]
	v_mul_f32_e32 v45, 0xbf167918, v104
	v_mul_f32_e32 v53, v47, v59
	v_fmac_f32_e32 v110, 0x3e9e377a, v107
	v_fmac_f32_e32 v60, 0x3f4f1bbd, v104
	v_mul_f32_e32 v59, v43, v59
	v_add_f32_e32 v11, v11, v112
	v_sub_f32_e32 v74, v54, v56
	v_sub_f32_e32 v75, v55, v57
	v_fmac_f32_e32 v102, 0x3e9e377a, v100
	v_fmac_f32_e32 v45, 0x3f4f1bbd, v92
	v_sub_f32_e32 v61, v110, v60
	v_fmac_f32_e32 v59, v58, v47
	v_add_f32_e32 v47, v11, v109
	v_add_f32_e32 v11, v93, v97
	;; [unrolled: 1-line block ×4, first 2 shown]
	v_sub_f32_e32 v42, v102, v45
	v_fma_f32 v53, v58, v43, -v53
	v_mul_f32_e32 v43, v61, v59
	v_add_f32_e32 v11, v11, v105
	v_fma_f32 v75, -0.5, v75, v10
	v_fmac_f32_e32 v43, v42, v53
	v_mul_f32_e32 v42, v42, v59
	v_add_f32_e32 v11, v11, v101
	v_add_f32_e32 v10, v10, v56
	v_fma_f32 v42, v61, v53, -v42
	v_add_f32_e32 v53, v11, v111
	v_mul_f32_e32 v11, v49, v51
	v_add_f32_e32 v10, v10, v54
	v_fma_f32 v11, v48, v50, -v11
	v_mul_f32_e32 v48, v48, v51
	v_add_f32_e32 v10, v10, v55
	v_fmac_f32_e32 v48, v49, v50
	v_add_f32_e32 v50, v10, v57
	v_add_f32_e32 v10, v44, v94
	;; [unrolled: 1-line block ×4, first 2 shown]
	v_sub_f32_e32 v3, v105, v97
	v_sub_f32_e32 v79, v101, v111
	v_mul_f32_e32 v49, v48, v41
	v_add_f32_e32 v44, v10, v52
	v_mul_f32_e32 v41, v11, v41
	v_add_f32_e32 v79, v3, v79
	v_add_f32_e32 v3, v97, v111
	v_sub_f32_e32 v58, v47, v53
	v_sub_f32_e32 v10, v50, v44
	v_fmac_f32_e32 v41, v40, v48
	v_fma_f32 v81, -0.5, v3, v93
	v_fma_f32 v49, v40, v11, -v49
	v_mul_f32_e32 v11, v10, v41
	v_mul_f32_e32 v40, v58, v41
	v_mul_f32_e32 v41, v37, v39
	v_mov_b32_e32 v3, v81
	v_fma_f32 v41, v36, v38, -v41
	v_mul_f32_e32 v36, v36, v39
	v_fmac_f32_e32 v3, 0xbf737871, v96
	v_fmac_f32_e32 v36, v37, v38
	v_mul_f32_e32 v39, v41, v35
	v_fmac_f32_e32 v3, 0x3f167918, v98
	v_fma_f32 v10, v10, v49, -v40
	v_add_f32_e32 v40, v99, v106
	v_mul_f32_e32 v37, v36, v35
	v_add_f32_e32 v38, v114, v116
	v_fmac_f32_e32 v39, v34, v36
	v_fmac_f32_e32 v3, 0x3e9e377a, v79
	v_mov_b32_e32 v120, v75
	v_fma_f32 v37, v34, v41, -v37
	v_mul_f32_e32 v35, v38, v39
	v_mul_f32_e32 v34, v40, v39
	v_fmac_f32_e32 v2, 0x3e9e377a, v7
	v_mul_f32_e32 v117, 0x3e9e377a, v3
	v_fmac_f32_e32 v120, 0x3f737871, v115
	v_fmac_f32_e32 v35, v40, v37
	v_fma_f32 v34, v38, v37, -v34
	v_mul_f32_e32 v37, v31, v33
	v_fma_f32 v117, v2, s6, -v117
	v_fmac_f32_e32 v120, 0xbf167918, v113
	v_mul_f32_e32 v2, 0x3e9e377a, v2
	v_fma_f32 v37, v30, v32, -v37
	v_mul_f32_e32 v30, v30, v33
	v_fmac_f32_e32 v77, 0x3e9e377a, v6
	v_fmac_f32_e32 v120, 0x3e9e377a, v74
	v_fma_f32 v121, v3, s4, -v2
	v_fmac_f32_e32 v30, v31, v32
	v_mul_f32_e32 v33, v37, v29
	v_fmac_f32_e32 v81, 0x3f737871, v96
	v_add_f32_e32 v36, v77, v117
	v_mul_f32_e32 v31, v30, v29
	v_add_f32_e32 v32, v120, v121
	v_fmac_f32_e32 v33, v28, v30
	v_sub_f32_e32 v118, v77, v117
	v_fmac_f32_e32 v81, 0xbf167918, v98
	v_fmac_f32_e32 v78, 0x3e9e377a, v7
	v_mul_f32_e32 v7, v67, v69
	v_fma_f32 v31, v28, v37, -v31
	v_mul_f32_e32 v29, v32, v33
	v_mul_f32_e32 v28, v36, v33
	v_sub_f32_e32 v2, v120, v121
	v_mul_f32_e32 v70, v118, v71
	v_fmac_f32_e32 v81, 0x3e9e377a, v79
	v_fma_f32 v7, v66, v68, -v7
	v_mul_f32_e32 v66, v66, v69
	v_fmac_f32_e32 v75, 0xbf737871, v115
	v_fmac_f32_e32 v29, v36, v31
	v_fma_f32 v28, v32, v31, -v28
	v_mul_f32_e32 v31, v25, v27
	v_mul_f32_e32 v3, v2, v71
	v_fma_f32 v2, v2, v73, -v70
	v_mul_f32_e32 v70, 0xbf737871, v78
	v_fmac_f32_e32 v66, v67, v68
	v_fmac_f32_e32 v75, 0x3f167918, v113
	v_mul_f32_e32 v68, 0x3f737871, v81
	v_fma_f32 v31, v24, v26, -v31
	v_mul_f32_e32 v24, v24, v27
	v_fmac_f32_e32 v76, 0x3e9e377a, v6
	v_fmac_f32_e32 v70, 0x3e9e377a, v81
	;; [unrolled: 1-line block ×5, first 2 shown]
	v_mul_f32_e32 v27, v31, v23
	v_add_f32_e32 v30, v76, v70
	v_mul_f32_e32 v25, v24, v23
	v_add_f32_e32 v26, v75, v68
	v_fmac_f32_e32 v27, v22, v24
	v_fma_f32 v25, v22, v31, -v25
	v_mul_f32_e32 v23, v26, v27
	v_mul_f32_e32 v22, v30, v27
	v_fmac_f32_e32 v23, v30, v25
	v_fma_f32 v22, v26, v25, -v22
	v_mul_f32_e32 v25, v19, v21
	v_fma_f32 v25, v18, v20, -v25
	v_mul_f32_e32 v18, v18, v21
	v_fmac_f32_e32 v18, v19, v20
	v_mul_f32_e32 v21, v25, v17
	v_add_f32_e32 v24, v102, v45
	v_mul_f32_e32 v19, v18, v17
	v_add_f32_e32 v20, v110, v60
	v_fmac_f32_e32 v21, v16, v18
	v_fma_f32 v19, v16, v25, -v19
	v_mul_f32_e32 v17, v20, v21
	v_mul_f32_e32 v16, v24, v21
	v_fmac_f32_e32 v17, v24, v19
	v_fma_f32 v16, v20, v19, -v16
	v_mul_f32_e32 v19, v13, v15
	v_fma_f32 v19, v12, v14, -v19
	v_mul_f32_e32 v12, v12, v15
	v_mul_f32_e32 v67, v66, v65
	;; [unrolled: 1-line block ×3, first 2 shown]
	v_fmac_f32_e32 v12, v13, v14
	v_mul_f32_e32 v15, v19, v5
	v_sub_f32_e32 v69, v75, v68
	v_fmac_f32_e32 v65, v64, v66
	v_add_f32_e32 v18, v47, v53
	v_mul_f32_e32 v13, v12, v5
	v_add_f32_e32 v14, v50, v44
	v_fmac_f32_e32 v15, v4, v12
	v_sub_f32_e32 v6, v76, v70
	v_fma_f32 v67, v64, v7, -v67
	v_mul_f32_e32 v7, v69, v65
	v_fma_f32 v13, v4, v19, -v13
	v_mul_f32_e32 v5, v14, v15
	v_mul_f32_e32 v4, v18, v15
	v_fmac_f32_e32 v7, v6, v67
	v_mul_f32_e32 v6, v6, v65
	v_fmac_f32_e32 v5, v18, v13
	v_fma_f32 v4, v14, v13, -v4
	v_fmac_f32_e32 v3, v118, v73
	v_fma_f32 v6, v69, v67, -v6
	v_fmac_f32_e32 v11, v58, v49
	ds_write_b64 v91, v[4:5]
	ds_write2_b64 v90, v[16:17], v[22:23] offset0:6 offset1:12
	ds_write2_b64 v90, v[28:29], v[34:35] offset0:18 offset1:24
	;; [unrolled: 1-line block ×4, first 2 shown]
	ds_write_b64 v90, v[0:1] offset:432
.LBB0_17:
	s_or_b64 exec, exec, s[2:3]
	s_waitcnt lgkmcnt(0)
	s_barrier
	s_and_saveexec_b64 s[2:3], s[0:1]
	s_cbranch_execz .LBB0_19
; %bb.18:
	v_mad_u64_u32 v[4:5], s[0:1], s10, v87, 0
	v_mad_u64_u32 v[6:7], s[0:1], s8, v89, 0
	v_mov_b32_e32 v0, v5
	v_mad_u64_u32 v[0:1], s[0:1], s11, v87, v[0:1]
	v_mov_b32_e32 v1, v7
	;; [unrolled: 2-line block ×3, first 2 shown]
	v_mov_b32_e32 v11, s17
	v_add_co_u32_e32 v12, vcc, s16, v8
	v_mul_u32_u24_e32 v0, 0x1e0, v87
	v_addc_co_u32_e32 v11, vcc, v11, v9, vcc
	v_lshlrev_b64 v[4:5], 3, v[4:5]
	v_mad_u64_u32 v[8:9], s[0:1], s8, v86, 0
	v_add3_u32 v10, 0, v0, v88
	v_mov_b32_e32 v7, v1
	ds_read2_b64 v[0:3], v10 offset1:10
	v_add_co_u32_e32 v12, vcc, v12, v4
	v_addc_co_u32_e32 v11, vcc, v11, v5, vcc
	v_lshlrev_b64 v[4:5], 3, v[6:7]
	v_mov_b32_e32 v6, v9
	v_mad_u64_u32 v[6:7], s[0:1], s9, v86, v[6:7]
	v_add_co_u32_e32 v4, vcc, v12, v4
	v_addc_co_u32_e32 v5, vcc, v11, v5, vcc
	s_waitcnt lgkmcnt(0)
	global_store_dwordx2 v[4:5], v[0:1], off
	v_mad_u64_u32 v[4:5], s[0:1], s8, v85, 0
	v_mov_b32_e32 v9, v6
	v_lshlrev_b64 v[0:1], 3, v[8:9]
	v_mad_u64_u32 v[5:6], s[0:1], s9, v85, v[5:6]
	v_add_co_u32_e32 v0, vcc, v12, v0
	v_addc_co_u32_e32 v1, vcc, v11, v1, vcc
	global_store_dwordx2 v[0:1], v[2:3], off
	ds_read2_b64 v[0:3], v10 offset0:20 offset1:30
	v_mad_u64_u32 v[6:7], s[0:1], s8, v84, 0
	v_lshlrev_b64 v[4:5], 3, v[4:5]
	v_add_co_u32_e32 v4, vcc, v12, v4
	v_addc_co_u32_e32 v5, vcc, v11, v5, vcc
	v_mad_u64_u32 v[7:8], s[0:1], s9, v84, v[7:8]
	s_waitcnt lgkmcnt(0)
	global_store_dwordx2 v[4:5], v[0:1], off
	v_mad_u64_u32 v[4:5], s[0:1], s8, v83, 0
	v_lshlrev_b64 v[0:1], 3, v[6:7]
	v_mad_u64_u32 v[5:6], s[0:1], s9, v83, v[5:6]
	v_mad_u64_u32 v[6:7], s[0:1], s8, v82, 0
	v_add_co_u32_e32 v0, vcc, v12, v0
	v_addc_co_u32_e32 v1, vcc, v11, v1, vcc
	global_store_dwordx2 v[0:1], v[2:3], off
	ds_read2_b64 v[0:3], v10 offset0:40 offset1:50
	v_lshlrev_b64 v[4:5], 3, v[4:5]
	v_mad_u64_u32 v[7:8], s[0:1], s9, v82, v[7:8]
	v_add_co_u32_e32 v4, vcc, v12, v4
	v_addc_co_u32_e32 v5, vcc, v11, v5, vcc
	s_waitcnt lgkmcnt(0)
	global_store_dwordx2 v[4:5], v[0:1], off
	v_lshlrev_b64 v[0:1], 3, v[6:7]
	v_add_co_u32_e32 v0, vcc, v12, v0
	v_addc_co_u32_e32 v1, vcc, v11, v1, vcc
	global_store_dwordx2 v[0:1], v[2:3], off
.LBB0_19:
	s_endpgm
	.section	.rodata,"a",@progbits
	.p2align	6, 0x0
	.amdhsa_kernel fft_rtc_fwd_len60_factors_6_10_wgs_160_tpt_10_sp_ip_CI_sbcc_twdbase8_3step
		.amdhsa_group_segment_fixed_size 0
		.amdhsa_private_segment_fixed_size 0
		.amdhsa_kernarg_size 96
		.amdhsa_user_sgpr_count 6
		.amdhsa_user_sgpr_private_segment_buffer 1
		.amdhsa_user_sgpr_dispatch_ptr 0
		.amdhsa_user_sgpr_queue_ptr 0
		.amdhsa_user_sgpr_kernarg_segment_ptr 1
		.amdhsa_user_sgpr_dispatch_id 0
		.amdhsa_user_sgpr_flat_scratch_init 0
		.amdhsa_user_sgpr_private_segment_size 0
		.amdhsa_uses_dynamic_stack 0
		.amdhsa_system_sgpr_private_segment_wavefront_offset 0
		.amdhsa_system_sgpr_workgroup_id_x 1
		.amdhsa_system_sgpr_workgroup_id_y 0
		.amdhsa_system_sgpr_workgroup_id_z 0
		.amdhsa_system_sgpr_workgroup_info 0
		.amdhsa_system_vgpr_workitem_id 0
		.amdhsa_next_free_vgpr 122
		.amdhsa_next_free_sgpr 43
		.amdhsa_reserve_vcc 1
		.amdhsa_reserve_flat_scratch 0
		.amdhsa_float_round_mode_32 0
		.amdhsa_float_round_mode_16_64 0
		.amdhsa_float_denorm_mode_32 3
		.amdhsa_float_denorm_mode_16_64 3
		.amdhsa_dx10_clamp 1
		.amdhsa_ieee_mode 1
		.amdhsa_fp16_overflow 0
		.amdhsa_exception_fp_ieee_invalid_op 0
		.amdhsa_exception_fp_denorm_src 0
		.amdhsa_exception_fp_ieee_div_zero 0
		.amdhsa_exception_fp_ieee_overflow 0
		.amdhsa_exception_fp_ieee_underflow 0
		.amdhsa_exception_fp_ieee_inexact 0
		.amdhsa_exception_int_div_zero 0
	.end_amdhsa_kernel
	.text
.Lfunc_end0:
	.size	fft_rtc_fwd_len60_factors_6_10_wgs_160_tpt_10_sp_ip_CI_sbcc_twdbase8_3step, .Lfunc_end0-fft_rtc_fwd_len60_factors_6_10_wgs_160_tpt_10_sp_ip_CI_sbcc_twdbase8_3step
                                        ; -- End function
	.section	.AMDGPU.csdata,"",@progbits
; Kernel info:
; codeLenInByte = 5204
; NumSgprs: 47
; NumVgprs: 122
; ScratchSize: 0
; MemoryBound: 0
; FloatMode: 240
; IeeeMode: 1
; LDSByteSize: 0 bytes/workgroup (compile time only)
; SGPRBlocks: 5
; VGPRBlocks: 30
; NumSGPRsForWavesPerEU: 47
; NumVGPRsForWavesPerEU: 122
; Occupancy: 2
; WaveLimiterHint : 1
; COMPUTE_PGM_RSRC2:SCRATCH_EN: 0
; COMPUTE_PGM_RSRC2:USER_SGPR: 6
; COMPUTE_PGM_RSRC2:TRAP_HANDLER: 0
; COMPUTE_PGM_RSRC2:TGID_X_EN: 1
; COMPUTE_PGM_RSRC2:TGID_Y_EN: 0
; COMPUTE_PGM_RSRC2:TGID_Z_EN: 0
; COMPUTE_PGM_RSRC2:TIDIG_COMP_CNT: 0
	.type	__hip_cuid_25bd3453512f5489,@object ; @__hip_cuid_25bd3453512f5489
	.section	.bss,"aw",@nobits
	.globl	__hip_cuid_25bd3453512f5489
__hip_cuid_25bd3453512f5489:
	.byte	0                               ; 0x0
	.size	__hip_cuid_25bd3453512f5489, 1

	.ident	"AMD clang version 19.0.0git (https://github.com/RadeonOpenCompute/llvm-project roc-6.4.0 25133 c7fe45cf4b819c5991fe208aaa96edf142730f1d)"
	.section	".note.GNU-stack","",@progbits
	.addrsig
	.addrsig_sym __hip_cuid_25bd3453512f5489
	.amdgpu_metadata
---
amdhsa.kernels:
  - .args:
      - .actual_access:  read_only
        .address_space:  global
        .offset:         0
        .size:           8
        .value_kind:     global_buffer
      - .address_space:  global
        .offset:         8
        .size:           8
        .value_kind:     global_buffer
      - .offset:         16
        .size:           8
        .value_kind:     by_value
      - .actual_access:  read_only
        .address_space:  global
        .offset:         24
        .size:           8
        .value_kind:     global_buffer
      - .actual_access:  read_only
        .address_space:  global
        .offset:         32
        .size:           8
        .value_kind:     global_buffer
      - .offset:         40
        .size:           8
        .value_kind:     by_value
      - .actual_access:  read_only
        .address_space:  global
        .offset:         48
        .size:           8
        .value_kind:     global_buffer
      - .actual_access:  read_only
        .address_space:  global
        .offset:         56
        .size:           8
        .value_kind:     global_buffer
      - .offset:         64
        .size:           4
        .value_kind:     by_value
      - .actual_access:  read_only
        .address_space:  global
        .offset:         72
        .size:           8
        .value_kind:     global_buffer
      - .actual_access:  read_only
        .address_space:  global
        .offset:         80
        .size:           8
        .value_kind:     global_buffer
      - .address_space:  global
        .offset:         88
        .size:           8
        .value_kind:     global_buffer
    .group_segment_fixed_size: 0
    .kernarg_segment_align: 8
    .kernarg_segment_size: 96
    .language:       OpenCL C
    .language_version:
      - 2
      - 0
    .max_flat_workgroup_size: 160
    .name:           fft_rtc_fwd_len60_factors_6_10_wgs_160_tpt_10_sp_ip_CI_sbcc_twdbase8_3step
    .private_segment_fixed_size: 0
    .sgpr_count:     47
    .sgpr_spill_count: 0
    .symbol:         fft_rtc_fwd_len60_factors_6_10_wgs_160_tpt_10_sp_ip_CI_sbcc_twdbase8_3step.kd
    .uniform_work_group_size: 1
    .uses_dynamic_stack: false
    .vgpr_count:     122
    .vgpr_spill_count: 0
    .wavefront_size: 64
amdhsa.target:   amdgcn-amd-amdhsa--gfx906
amdhsa.version:
  - 1
  - 2
...

	.end_amdgpu_metadata
